;; amdgpu-corpus repo=ROCm/rocFFT kind=compiled arch=gfx1030 opt=O3
	.text
	.amdgcn_target "amdgcn-amd-amdhsa--gfx1030"
	.amdhsa_code_object_version 6
	.protected	fft_rtc_fwd_len231_factors_11_7_3_wgs_231_tpt_33_dp_ip_CI_sbrr_dirReg ; -- Begin function fft_rtc_fwd_len231_factors_11_7_3_wgs_231_tpt_33_dp_ip_CI_sbrr_dirReg
	.globl	fft_rtc_fwd_len231_factors_11_7_3_wgs_231_tpt_33_dp_ip_CI_sbrr_dirReg
	.p2align	8
	.type	fft_rtc_fwd_len231_factors_11_7_3_wgs_231_tpt_33_dp_ip_CI_sbrr_dirReg,@function
fft_rtc_fwd_len231_factors_11_7_3_wgs_231_tpt_33_dp_ip_CI_sbrr_dirReg: ; @fft_rtc_fwd_len231_factors_11_7_3_wgs_231_tpt_33_dp_ip_CI_sbrr_dirReg
; %bb.0:
	s_clause 0x1
	s_load_dwordx2 s[14:15], s[4:5], 0x18
	s_load_dwordx4 s[8:11], s[4:5], 0x0
	v_mul_u32_u24_e32 v1, 0x7c2, v0
	v_mov_b32_e32 v5, 0
	v_mov_b32_e32 v3, 0
	v_mov_b32_e32 v4, 0
	s_load_dwordx2 s[12:13], s[4:5], 0x50
	s_waitcnt lgkmcnt(0)
	s_load_dwordx2 s[2:3], s[14:15], 0x0
	v_lshrrev_b32_e32 v1, 16, v1
	v_cmp_lt_u64_e64 s0, s[10:11], 2
	v_mad_u64_u32 v[1:2], null, s6, 7, v[1:2]
	v_mov_b32_e32 v2, v5
	s_and_b32 vcc_lo, exec_lo, s0
	v_mov_b32_e32 v10, v2
	v_mov_b32_e32 v9, v1
	s_cbranch_vccnz .LBB0_8
; %bb.1:
	s_load_dwordx2 s[0:1], s[4:5], 0x10
	v_mov_b32_e32 v3, 0
	v_mov_b32_e32 v8, v2
	s_add_u32 s6, s14, 8
	v_mov_b32_e32 v4, 0
	v_mov_b32_e32 v7, v1
	s_addc_u32 s7, s15, 0
	s_mov_b64 s[18:19], 1
	s_waitcnt lgkmcnt(0)
	s_add_u32 s16, s0, 8
	s_addc_u32 s17, s1, 0
.LBB0_2:                                ; =>This Inner Loop Header: Depth=1
	s_load_dwordx2 s[20:21], s[16:17], 0x0
                                        ; implicit-def: $vgpr9_vgpr10
	s_mov_b32 s0, exec_lo
	s_waitcnt lgkmcnt(0)
	v_or_b32_e32 v6, s21, v8
	v_cmpx_ne_u64_e32 0, v[5:6]
	s_xor_b32 s1, exec_lo, s0
	s_cbranch_execz .LBB0_4
; %bb.3:                                ;   in Loop: Header=BB0_2 Depth=1
	v_cvt_f32_u32_e32 v2, s20
	v_cvt_f32_u32_e32 v6, s21
	s_sub_u32 s0, 0, s20
	s_subb_u32 s22, 0, s21
	v_fmac_f32_e32 v2, 0x4f800000, v6
	v_rcp_f32_e32 v2, v2
	v_mul_f32_e32 v2, 0x5f7ffffc, v2
	v_mul_f32_e32 v6, 0x2f800000, v2
	v_trunc_f32_e32 v6, v6
	v_fmac_f32_e32 v2, 0xcf800000, v6
	v_cvt_u32_f32_e32 v6, v6
	v_cvt_u32_f32_e32 v2, v2
	v_mul_lo_u32 v9, s0, v6
	v_mul_hi_u32 v10, s0, v2
	v_mul_lo_u32 v11, s22, v2
	v_add_nc_u32_e32 v9, v10, v9
	v_mul_lo_u32 v10, s0, v2
	v_add_nc_u32_e32 v9, v9, v11
	v_mul_hi_u32 v11, v2, v10
	v_mul_lo_u32 v12, v2, v9
	v_mul_hi_u32 v13, v2, v9
	v_mul_hi_u32 v14, v6, v10
	v_mul_lo_u32 v10, v6, v10
	v_mul_hi_u32 v15, v6, v9
	v_mul_lo_u32 v9, v6, v9
	v_add_co_u32 v11, vcc_lo, v11, v12
	v_add_co_ci_u32_e32 v12, vcc_lo, 0, v13, vcc_lo
	v_add_co_u32 v10, vcc_lo, v11, v10
	v_add_co_ci_u32_e32 v10, vcc_lo, v12, v14, vcc_lo
	v_add_co_ci_u32_e32 v11, vcc_lo, 0, v15, vcc_lo
	v_add_co_u32 v9, vcc_lo, v10, v9
	v_add_co_ci_u32_e32 v10, vcc_lo, 0, v11, vcc_lo
	v_add_co_u32 v2, vcc_lo, v2, v9
	v_add_co_ci_u32_e32 v6, vcc_lo, v6, v10, vcc_lo
	v_mul_hi_u32 v9, s0, v2
	v_mul_lo_u32 v11, s22, v2
	v_mul_lo_u32 v10, s0, v6
	v_add_nc_u32_e32 v9, v9, v10
	v_mul_lo_u32 v10, s0, v2
	v_add_nc_u32_e32 v9, v9, v11
	v_mul_hi_u32 v11, v2, v10
	v_mul_lo_u32 v12, v2, v9
	v_mul_hi_u32 v13, v2, v9
	v_mul_hi_u32 v14, v6, v10
	v_mul_lo_u32 v10, v6, v10
	v_mul_hi_u32 v15, v6, v9
	v_mul_lo_u32 v9, v6, v9
	v_add_co_u32 v11, vcc_lo, v11, v12
	v_add_co_ci_u32_e32 v12, vcc_lo, 0, v13, vcc_lo
	v_add_co_u32 v10, vcc_lo, v11, v10
	v_add_co_ci_u32_e32 v10, vcc_lo, v12, v14, vcc_lo
	v_add_co_ci_u32_e32 v11, vcc_lo, 0, v15, vcc_lo
	v_add_co_u32 v9, vcc_lo, v10, v9
	v_add_co_ci_u32_e32 v10, vcc_lo, 0, v11, vcc_lo
	v_add_co_u32 v2, vcc_lo, v2, v9
	v_add_co_ci_u32_e32 v6, vcc_lo, v6, v10, vcc_lo
	v_mul_hi_u32 v15, v7, v2
	v_mad_u64_u32 v[11:12], null, v8, v2, 0
	v_mad_u64_u32 v[9:10], null, v7, v6, 0
	v_mad_u64_u32 v[13:14], null, v8, v6, 0
	v_add_co_u32 v2, vcc_lo, v15, v9
	v_add_co_ci_u32_e32 v6, vcc_lo, 0, v10, vcc_lo
	v_add_co_u32 v2, vcc_lo, v2, v11
	v_add_co_ci_u32_e32 v2, vcc_lo, v6, v12, vcc_lo
	v_add_co_ci_u32_e32 v6, vcc_lo, 0, v14, vcc_lo
	v_add_co_u32 v2, vcc_lo, v2, v13
	v_add_co_ci_u32_e32 v6, vcc_lo, 0, v6, vcc_lo
	v_mul_lo_u32 v11, s21, v2
	v_mad_u64_u32 v[9:10], null, s20, v2, 0
	v_mul_lo_u32 v12, s20, v6
	v_sub_co_u32 v9, vcc_lo, v7, v9
	v_add3_u32 v10, v10, v12, v11
	v_sub_nc_u32_e32 v11, v8, v10
	v_subrev_co_ci_u32_e64 v11, s0, s21, v11, vcc_lo
	v_add_co_u32 v12, s0, v2, 2
	v_add_co_ci_u32_e64 v13, s0, 0, v6, s0
	v_sub_co_u32 v14, s0, v9, s20
	v_sub_co_ci_u32_e32 v10, vcc_lo, v8, v10, vcc_lo
	v_subrev_co_ci_u32_e64 v11, s0, 0, v11, s0
	v_cmp_le_u32_e32 vcc_lo, s20, v14
	v_cmp_eq_u32_e64 s0, s21, v10
	v_cndmask_b32_e64 v14, 0, -1, vcc_lo
	v_cmp_le_u32_e32 vcc_lo, s21, v11
	v_cndmask_b32_e64 v15, 0, -1, vcc_lo
	v_cmp_le_u32_e32 vcc_lo, s20, v9
	;; [unrolled: 2-line block ×3, first 2 shown]
	v_cndmask_b32_e64 v16, 0, -1, vcc_lo
	v_cmp_eq_u32_e32 vcc_lo, s21, v11
	v_cndmask_b32_e64 v9, v16, v9, s0
	v_cndmask_b32_e32 v11, v15, v14, vcc_lo
	v_add_co_u32 v14, vcc_lo, v2, 1
	v_add_co_ci_u32_e32 v15, vcc_lo, 0, v6, vcc_lo
	v_cmp_ne_u32_e32 vcc_lo, 0, v11
	v_cndmask_b32_e32 v10, v15, v13, vcc_lo
	v_cndmask_b32_e32 v11, v14, v12, vcc_lo
	v_cmp_ne_u32_e32 vcc_lo, 0, v9
	v_cndmask_b32_e32 v10, v6, v10, vcc_lo
	v_cndmask_b32_e32 v9, v2, v11, vcc_lo
.LBB0_4:                                ;   in Loop: Header=BB0_2 Depth=1
	s_andn2_saveexec_b32 s0, s1
	s_cbranch_execz .LBB0_6
; %bb.5:                                ;   in Loop: Header=BB0_2 Depth=1
	v_cvt_f32_u32_e32 v2, s20
	s_sub_i32 s1, 0, s20
	v_rcp_iflag_f32_e32 v2, v2
	v_mul_f32_e32 v2, 0x4f7ffffe, v2
	v_cvt_u32_f32_e32 v2, v2
	v_mul_lo_u32 v6, s1, v2
	v_mul_hi_u32 v6, v2, v6
	v_add_nc_u32_e32 v2, v2, v6
	v_mul_hi_u32 v2, v7, v2
	v_mul_lo_u32 v6, v2, s20
	v_add_nc_u32_e32 v9, 1, v2
	v_sub_nc_u32_e32 v6, v7, v6
	v_subrev_nc_u32_e32 v10, s20, v6
	v_cmp_le_u32_e32 vcc_lo, s20, v6
	v_cndmask_b32_e32 v6, v6, v10, vcc_lo
	v_cndmask_b32_e32 v2, v2, v9, vcc_lo
	v_mov_b32_e32 v10, v5
	v_cmp_le_u32_e32 vcc_lo, s20, v6
	v_add_nc_u32_e32 v9, 1, v2
	v_cndmask_b32_e32 v9, v2, v9, vcc_lo
.LBB0_6:                                ;   in Loop: Header=BB0_2 Depth=1
	s_or_b32 exec_lo, exec_lo, s0
	s_load_dwordx2 s[0:1], s[6:7], 0x0
	v_mul_lo_u32 v2, v10, s20
	v_mul_lo_u32 v6, v9, s21
	v_mad_u64_u32 v[11:12], null, v9, s20, 0
	s_add_u32 s18, s18, 1
	s_addc_u32 s19, s19, 0
	s_add_u32 s6, s6, 8
	s_addc_u32 s7, s7, 0
	s_add_u32 s16, s16, 8
	s_addc_u32 s17, s17, 0
	v_add3_u32 v2, v12, v6, v2
	v_sub_co_u32 v6, vcc_lo, v7, v11
	v_sub_co_ci_u32_e32 v2, vcc_lo, v8, v2, vcc_lo
	s_waitcnt lgkmcnt(0)
	v_mul_lo_u32 v7, s1, v6
	v_mul_lo_u32 v2, s0, v2
	v_mad_u64_u32 v[3:4], null, s0, v6, v[3:4]
	v_cmp_ge_u64_e64 s0, s[18:19], s[10:11]
	s_and_b32 vcc_lo, exec_lo, s0
	v_add3_u32 v4, v7, v4, v2
	s_cbranch_vccnz .LBB0_8
; %bb.7:                                ;   in Loop: Header=BB0_2 Depth=1
	v_mov_b32_e32 v7, v9
	v_mov_b32_e32 v8, v10
	s_branch .LBB0_2
.LBB0_8:
	v_mul_hi_u32 v2, 0x24924925, v1
	s_lshl_b64 s[0:1], s[10:11], 3
	v_mul_hi_u32 v6, 0x7c1f07d, v0
	s_add_u32 s0, s14, s0
	s_addc_u32 s1, s15, s1
	s_load_dwordx2 s[4:5], s[4:5], 0x20
	s_load_dwordx2 s[0:1], s[0:1], 0x0
	v_sub_nc_u32_e32 v5, v1, v2
	v_lshrrev_b32_e32 v5, 1, v5
	v_add_nc_u32_e32 v2, v5, v2
	v_mul_u32_u24_e32 v5, 33, v6
	v_lshrrev_b32_e32 v2, 2, v2
	v_sub_nc_u32_e32 v140, v0, v5
	s_waitcnt lgkmcnt(0)
	v_cmp_gt_u64_e32 vcc_lo, s[4:5], v[9:10]
	v_mul_lo_u32 v6, s0, v10
	v_mul_lo_u32 v7, s1, v9
	v_mul_lo_u32 v5, v2, 7
	v_mad_u64_u32 v[2:3], null, s0, v9, v[3:4]
	v_lshlrev_b32_e32 v0, 4, v140
	v_add_nc_u32_e32 v139, 33, v140
	v_add_nc_u32_e32 v138, 0x42, v140
	;; [unrolled: 1-line block ×4, first 2 shown]
	v_sub_nc_u32_e32 v1, v1, v5
	v_add3_u32 v3, v7, v3, v6
	v_add_nc_u32_e32 v134, 0xa5, v140
	v_add_nc_u32_e32 v135, 0xc6, v140
	v_mul_u32_u24_e32 v141, 0xe7, v1
	v_lshlrev_b64 v[52:53], 4, v[2:3]
	v_lshlrev_b32_e32 v145, 4, v141
	s_and_saveexec_b32 s1, vcc_lo
	s_cbranch_execz .LBB0_10
; %bb.9:
	v_mad_u64_u32 v[1:2], null, s2, v140, 0
	v_mad_u64_u32 v[3:4], null, s2, v139, 0
	;; [unrolled: 1-line block ×3, first 2 shown]
	v_add_co_u32 v25, s0, s12, v52
	v_add_co_ci_u32_e64 v26, s0, s13, v53, s0
	v_mad_u64_u32 v[5:6], null, s3, v140, v[2:3]
	v_mad_u64_u32 v[11:12], null, s2, v137, 0
	;; [unrolled: 1-line block ×5, first 2 shown]
	v_mov_b32_e32 v2, v5
	v_mov_b32_e32 v5, v10
	v_add3_u32 v29, 0, v145, v0
	v_lshlrev_b64 v[1:2], 4, v[1:2]
	v_mov_b32_e32 v4, v6
	v_mad_u64_u32 v[5:6], null, s3, v138, v[5:6]
	v_lshlrev_b64 v[3:4], 4, v[3:4]
	v_add_co_u32 v1, s0, v25, v1
	v_add_co_ci_u32_e64 v2, s0, v26, v2, s0
	v_mov_b32_e32 v10, v5
	v_add_co_u32 v6, s0, v25, v3
	v_add_co_ci_u32_e64 v7, s0, v26, v4, s0
	v_mov_b32_e32 v3, v12
	v_mov_b32_e32 v4, v14
	v_lshlrev_b64 v[9:10], 4, v[9:10]
	v_mad_u64_u32 v[17:18], null, s3, v137, v[3:4]
	v_mad_u64_u32 v[18:19], null, s3, v136, v[4:5]
	;; [unrolled: 1-line block ×3, first 2 shown]
	v_add_co_u32 v9, s0, v25, v9
	v_mov_b32_e32 v12, v17
	v_mad_u64_u32 v[16:17], null, s3, v134, v[16:17]
	v_mov_b32_e32 v14, v18
	v_mov_b32_e32 v17, v20
	v_lshlrev_b64 v[11:12], 4, v[11:12]
	v_add_co_ci_u32_e64 v10, s0, v26, v10, s0
	v_lshlrev_b64 v[13:14], 4, v[13:14]
	v_mad_u64_u32 v[17:18], null, s3, v135, v[17:18]
	v_add_co_u32 v21, s0, v25, v11
	v_add_co_ci_u32_e64 v22, s0, v26, v12, s0
	v_lshlrev_b64 v[11:12], 4, v[15:16]
	s_clause 0x1
	global_load_dwordx4 v[1:4], v[1:2], off
	global_load_dwordx4 v[5:8], v[6:7], off
	v_mov_b32_e32 v20, v17
	v_add_co_u32 v17, s0, v25, v13
	v_add_co_ci_u32_e64 v18, s0, v26, v14, s0
	v_lshlrev_b64 v[13:14], 4, v[19:20]
	v_add_co_u32 v23, s0, v25, v11
	v_add_co_ci_u32_e64 v24, s0, v26, v12, s0
	v_add_co_u32 v25, s0, v25, v13
	v_add_co_ci_u32_e64 v26, s0, v26, v14, s0
	s_clause 0x4
	global_load_dwordx4 v[9:12], v[9:10], off
	global_load_dwordx4 v[13:16], v[21:22], off
	global_load_dwordx4 v[17:20], v[17:18], off
	global_load_dwordx4 v[21:24], v[23:24], off
	global_load_dwordx4 v[25:28], v[25:26], off
	s_waitcnt vmcnt(6)
	ds_write_b128 v29, v[1:4]
	s_waitcnt vmcnt(5)
	ds_write_b128 v29, v[5:8] offset:528
	s_waitcnt vmcnt(4)
	ds_write_b128 v29, v[9:12] offset:1056
	;; [unrolled: 2-line block ×6, first 2 shown]
.LBB0_10:
	s_or_b32 exec_lo, exec_lo, s1
	v_add_nc_u32_e32 v144, 0, v0
	s_waitcnt lgkmcnt(0)
	s_barrier
	buffer_gl0_inv
	v_add3_u32 v143, 0, v145, v0
	v_add_nc_u32_e32 v142, v144, v145
	s_mov_b32 s6, 0x43842ef
	s_mov_b32 s10, 0xbb3a28a1
	;; [unrolled: 1-line block ×4, first 2 shown]
	ds_read_b128 v[8:11], v142 offset:3360
	ds_read_b128 v[48:51], v142 offset:336
	;; [unrolled: 1-line block ×4, first 2 shown]
	ds_read_b128 v[16:19], v143
	ds_read_b128 v[24:27], v142 offset:1008
	ds_read_b128 v[20:23], v142 offset:2688
	s_mov_b32 s4, 0x640f44db
	s_mov_b32 s16, 0xfd768dbf
	;; [unrolled: 1-line block ×8, first 2 shown]
	ds_read_b128 v[32:35], v142 offset:2352
	ds_read_b128 v[44:47], v142 offset:1344
	s_mov_b32 s14, 0x9bcd5057
	s_mov_b32 s28, 0x8eee2c13
	;; [unrolled: 1-line block ×6, first 2 shown]
	ds_read_b128 v[40:43], v142 offset:1680
	ds_read_b128 v[36:39], v142 offset:2016
	s_waitcnt lgkmcnt(9)
	v_add_f64 v[56:57], v[50:51], -v[10:11]
	v_add_f64 v[54:55], v[48:49], -v[8:9]
	s_waitcnt lgkmcnt(7)
	v_add_f64 v[68:69], v[30:31], -v[14:15]
	v_add_f64 v[58:59], v[28:29], -v[12:13]
	v_add_f64 v[60:61], v[48:49], v[8:9]
	v_add_f64 v[96:97], v[50:51], v[10:11]
	s_waitcnt lgkmcnt(4)
	v_add_f64 v[80:81], v[26:27], -v[22:23]
	v_add_f64 v[64:65], v[24:25], -v[20:21]
	v_add_f64 v[76:77], v[28:29], v[12:13]
	v_add_f64 v[92:93], v[30:31], v[14:15]
	;; [unrolled: 1-line block ×4, first 2 shown]
	s_waitcnt lgkmcnt(2)
	v_add_f64 v[78:79], v[46:47], -v[34:35]
	v_add_f64 v[62:63], v[44:45], -v[32:33]
	s_mov_b32 s30, 0xd9c712b6
	s_mov_b32 s24, 0x8764f0ba
	;; [unrolled: 1-line block ×6, first 2 shown]
	v_add_f64 v[74:75], v[44:45], v[32:33]
	v_add_f64 v[94:95], v[46:47], v[34:35]
	v_mul_f64 v[100:101], v[56:57], s[6:7]
	v_mul_f64 v[104:105], v[54:55], s[6:7]
	;; [unrolled: 1-line block ×12, first 2 shown]
	s_waitcnt lgkmcnt(0)
	v_add_f64 v[82:83], v[42:43], -v[38:39]
	v_add_f64 v[66:67], v[40:41], -v[36:37]
	v_mul_f64 v[98:99], v[78:79], s[20:21]
	v_mul_f64 v[108:109], v[62:63], s[20:21]
	v_mul_f64 v[116:117], v[78:79], s[26:27]
	v_mul_f64 v[124:125], v[62:63], s[26:27]
	s_mov_b32 s33, exec_lo
	s_barrier
	buffer_gl0_inv
	v_fma_f64 v[0:1], v[60:61], s[4:5], v[100:101]
	v_fma_f64 v[2:3], v[96:97], s[4:5], -v[104:105]
	v_fma_f64 v[4:5], v[60:61], s[18:19], v[130:131]
	v_fma_f64 v[6:7], v[96:97], s[18:19], -v[132:133]
	;; [unrolled: 2-line block ×6, first 2 shown]
	v_mul_f64 v[114:115], v[82:83], s[28:29]
	v_mul_f64 v[120:121], v[66:67], s[28:29]
	v_fma_f64 v[154:155], v[74:75], s[24:25], v[98:99]
	v_fma_f64 v[156:157], v[94:95], s[24:25], -v[108:109]
	v_fma_f64 v[158:159], v[74:75], s[14:15], v[116:117]
	v_fma_f64 v[160:161], v[94:95], s[14:15], -v[124:125]
	v_add_f64 v[0:1], v[16:17], v[0:1]
	v_add_f64 v[2:3], v[18:19], v[2:3]
	v_add_f64 v[4:5], v[16:17], v[4:5]
	v_add_f64 v[6:7], v[18:19], v[6:7]
	v_add_f64 v[0:1], v[72:73], v[0:1]
	v_add_f64 v[2:3], v[84:85], v[2:3]
	v_add_f64 v[4:5], v[86:87], v[4:5]
	v_add_f64 v[6:7], v[90:91], v[6:7]
	v_add_f64 v[72:73], v[40:41], v[36:37]
	v_add_f64 v[90:91], v[42:43], v[38:39]
	v_mul_f64 v[84:85], v[82:83], s[10:11]
	v_mul_f64 v[86:87], v[66:67], s[10:11]
	v_add_f64 v[0:1], v[146:147], v[0:1]
	v_add_f64 v[2:3], v[148:149], v[2:3]
	v_add_f64 v[4:5], v[150:151], v[4:5]
	v_add_f64 v[6:7], v[152:153], v[6:7]
	v_fma_f64 v[150:151], v[72:73], s[30:31], v[114:115]
	v_fma_f64 v[152:153], v[90:91], s[30:31], -v[120:121]
	v_fma_f64 v[146:147], v[72:73], s[18:19], v[84:85]
	v_fma_f64 v[148:149], v[90:91], s[18:19], -v[86:87]
	v_add_f64 v[0:1], v[154:155], v[0:1]
	v_add_f64 v[2:3], v[156:157], v[2:3]
	;; [unrolled: 1-line block ×8, first 2 shown]
	v_cmpx_gt_u32_e32 21, v140
	s_cbranch_execz .LBB0_12
; %bb.11:
	v_mul_f64 v[146:147], v[96:97], s[14:15]
	v_mul_f64 v[148:149], v[56:57], s[26:27]
	;; [unrolled: 1-line block ×4, first 2 shown]
	s_mov_b32 s1, 0x3fe14ced
	s_mov_b32 s0, s20
	v_add_f64 v[50:51], v[18:19], v[50:51]
	v_add_f64 v[48:49], v[16:17], v[48:49]
	v_mul_f64 v[156:157], v[92:93], s[24:25]
	v_mul_f64 v[160:161], v[92:93], s[4:5]
	;; [unrolled: 1-line block ×11, first 2 shown]
	s_mov_b32 s35, 0x3fe82f19
	s_mov_b32 s34, s10
	v_mul_f64 v[154:155], v[94:95], s[14:15]
	v_fma_f64 v[174:175], v[54:55], s[16:17], v[146:147]
	v_fma_f64 v[176:177], v[60:61], s[14:15], v[148:149]
	;; [unrolled: 1-line block ×3, first 2 shown]
	v_fma_f64 v[148:149], v[60:61], s[14:15], -v[148:149]
	v_add_f64 v[132:133], v[132:133], v[150:151]
	v_add_f64 v[130:131], v[152:153], -v[130:131]
	v_add_f64 v[30:31], v[50:51], v[30:31]
	v_add_f64 v[28:29], v[48:49], v[28:29]
	v_mul_f64 v[150:151], v[80:81], s[10:11]
	v_fma_f64 v[192:193], v[58:59], s[20:21], v[156:157]
	v_add_f64 v[128:129], v[128:129], v[160:161]
	v_fma_f64 v[156:157], v[58:59], s[0:1], v[156:157]
	v_fma_f64 v[160:161], v[76:77], s[24:25], v[170:171]
	v_fma_f64 v[170:171], v[76:77], s[24:25], -v[170:171]
	v_add_f64 v[122:123], v[162:163], -v[122:123]
	v_add_f64 v[104:105], v[104:105], v[164:165]
	v_add_f64 v[100:101], v[166:167], -v[100:101]
	v_mul_f64 v[152:153], v[74:75], s[14:15]
	v_mul_f64 v[182:183], v[94:95], s[30:31]
	;; [unrolled: 1-line block ×3, first 2 shown]
	v_add_f64 v[50:51], v[126:127], v[158:159]
	v_fma_f64 v[126:127], v[64:65], s[34:35], v[168:169]
	v_add_f64 v[174:175], v[18:19], v[174:175]
	v_add_f64 v[176:177], v[16:17], v[176:177]
	;; [unrolled: 1-line block ×8, first 2 shown]
	v_fma_f64 v[158:159], v[70:71], s[18:19], v[150:151]
	v_fma_f64 v[164:165], v[64:65], s[10:11], v[168:169]
	v_fma_f64 v[150:151], v[70:71], s[18:19], -v[150:151]
	v_add_f64 v[118:119], v[172:173], -v[118:119]
	v_mul_f64 v[190:191], v[88:89], s[30:31]
	v_add_f64 v[28:29], v[112:113], v[178:179]
	v_mul_f64 v[186:187], v[70:71], s[30:31]
	v_add_f64 v[104:105], v[18:19], v[104:105]
	v_add_f64 v[30:31], v[180:181], -v[110:111]
	v_add_f64 v[100:101], v[16:17], v[100:101]
	s_mov_b32 s37, 0xbfed1bb4
	s_mov_b32 s36, s28
	v_add_f64 v[124:125], v[124:125], v[154:155]
	v_fma_f64 v[110:111], v[62:63], s[36:37], v[182:183]
	v_add_f64 v[166:167], v[192:193], v[174:175]
	v_add_f64 v[160:161], v[160:161], v[176:177]
	;; [unrolled: 1-line block ×8, first 2 shown]
	v_mul_f64 v[132:133], v[96:97], s[30:31]
	v_mul_f64 v[96:97], v[96:97], s[24:25]
	v_fma_f64 v[112:113], v[74:75], s[30:31], v[184:185]
	v_fma_f64 v[154:155], v[62:63], s[28:29], v[182:183]
	v_add_f64 v[116:117], v[152:153], -v[116:117]
	v_add_f64 v[44:45], v[106:107], v[190:191]
	v_add_f64 v[46:47], v[186:187], -v[102:103]
	v_add_f64 v[28:29], v[28:29], v[104:105]
	v_mul_f64 v[194:195], v[74:75], s[24:25]
	v_add_f64 v[30:31], v[30:31], v[100:101]
	v_fma_f64 v[168:169], v[74:75], s[30:31], -v[184:185]
	v_mul_f64 v[196:197], v[94:95], s[24:25]
	v_mul_f64 v[188:189], v[90:91], s[30:31]
	;; [unrolled: 1-line block ×3, first 2 shown]
	v_add_f64 v[126:127], v[126:127], v[166:167]
	v_add_f64 v[158:159], v[158:159], v[160:161]
	;; [unrolled: 1-line block ×5, first 2 shown]
	v_mul_f64 v[150:151], v[56:57], s[20:21]
	v_add_f64 v[118:119], v[118:119], v[122:123]
	v_mul_f64 v[56:57], v[56:57], s[36:37]
	v_add_f64 v[26:27], v[26:27], v[42:43]
	v_add_f64 v[24:25], v[24:25], v[40:41]
	v_mul_f64 v[122:123], v[92:93], s[18:19]
	v_mul_f64 v[92:93], v[92:93], s[30:31]
	v_mul_f64 v[48:49], v[82:83], s[6:7]
	v_mul_f64 v[128:129], v[90:91], s[18:19]
	v_mul_f64 v[130:131], v[72:73], s[18:19]
	v_add_f64 v[28:29], v[44:45], v[28:29]
	v_mul_f64 v[156:157], v[72:73], s[30:31]
	v_add_f64 v[30:31], v[46:47], v[30:31]
	v_add_f64 v[108:109], v[108:109], v[196:197]
	;; [unrolled: 1-line block ×3, first 2 shown]
	v_fma_f64 v[104:105], v[66:67], s[6:7], v[162:163]
	v_add_f64 v[100:101], v[110:111], v[126:127]
	v_add_f64 v[110:111], v[112:113], v[158:159]
	;; [unrolled: 1-line block ×3, first 2 shown]
	v_mul_f64 v[146:147], v[68:69], s[10:11]
	v_add_f64 v[50:51], v[124:125], v[50:51]
	v_fma_f64 v[124:125], v[54:55], s[36:37], v[132:133]
	v_add_f64 v[116:117], v[116:117], v[118:119]
	v_fma_f64 v[118:119], v[54:55], s[20:21], v[96:97]
	v_mul_f64 v[68:69], v[68:69], s[36:37]
	v_fma_f64 v[40:41], v[60:61], s[24:25], -v[150:151]
	v_fma_f64 v[42:43], v[60:61], s[30:31], -v[56:57]
	v_fma_f64 v[132:133], v[54:55], s[28:29], v[132:133]
	v_fma_f64 v[44:45], v[60:61], s[30:31], v[56:57]
	;; [unrolled: 1-line block ×4, first 2 shown]
	v_add_f64 v[26:27], v[26:27], v[38:39]
	v_add_f64 v[24:25], v[24:25], v[36:37]
	v_add_f64 v[56:57], v[194:195], -v[98:99]
	v_mul_f64 v[60:61], v[88:89], s[14:15]
	v_mul_f64 v[96:97], v[80:81], s[16:17]
	v_fma_f64 v[98:99], v[58:59], s[10:11], v[122:123]
	v_mul_f64 v[88:89], v[88:89], s[4:5]
	v_mul_f64 v[80:81], v[80:81], s[6:7]
	v_fma_f64 v[150:151], v[58:59], s[36:37], v[92:93]
	v_add_f64 v[126:127], v[168:169], v[148:149]
	v_fma_f64 v[148:149], v[76:77], s[18:19], -v[146:147]
	v_add_f64 v[28:29], v[108:109], v[28:29]
	v_add_f64 v[124:125], v[18:19], v[124:125]
	v_add_f64 v[114:115], v[156:157], -v[114:115]
	v_add_f64 v[118:119], v[18:19], v[118:119]
	v_fma_f64 v[152:153], v[76:77], s[30:31], -v[68:69]
	v_add_f64 v[36:37], v[16:17], v[40:41]
	v_add_f64 v[38:39], v[16:17], v[42:43]
	v_fma_f64 v[40:41], v[58:59], s[34:35], v[122:123]
	v_add_f64 v[42:43], v[18:19], v[132:133]
	v_fma_f64 v[122:123], v[76:77], s[18:19], v[146:147]
	;; [unrolled: 2-line block ×4, first 2 shown]
	v_add_f64 v[16:17], v[16:17], v[46:47]
	v_add_f64 v[26:27], v[26:27], v[34:35]
	;; [unrolled: 1-line block ×3, first 2 shown]
	v_mul_f64 v[46:47], v[94:95], s[4:5]
	v_mul_f64 v[68:69], v[78:79], s[22:23]
	v_fma_f64 v[76:77], v[64:65], s[16:17], v[60:61]
	v_mul_f64 v[94:95], v[94:95], s[18:19]
	v_mul_f64 v[78:79], v[78:79], s[10:11]
	v_fma_f64 v[132:133], v[70:71], s[4:5], -v[80:81]
	v_add_f64 v[92:93], v[98:99], v[124:125]
	v_fma_f64 v[124:125], v[64:65], s[6:7], v[88:89]
	v_add_f64 v[118:119], v[150:151], v[118:119]
	v_fma_f64 v[98:99], v[70:71], s[14:15], -v[96:97]
	v_add_f64 v[32:33], v[152:153], v[36:37]
	v_add_f64 v[34:35], v[148:149], v[38:39]
	v_fma_f64 v[36:37], v[64:65], s[26:27], v[60:61]
	v_add_f64 v[38:39], v[40:41], v[42:43]
	v_fma_f64 v[40:41], v[70:71], s[14:15], v[96:97]
	;; [unrolled: 2-line block ×4, first 2 shown]
	v_add_f64 v[16:17], v[54:55], v[16:17]
	v_add_f64 v[22:23], v[26:27], v[22:23]
	;; [unrolled: 1-line block ×3, first 2 shown]
	v_mul_f64 v[54:55], v[90:91], s[24:25]
	v_mul_f64 v[60:61], v[82:83], s[0:1]
	v_fma_f64 v[64:65], v[62:63], s[22:23], v[46:47]
	v_mul_f64 v[80:81], v[90:91], s[14:15]
	v_mul_f64 v[82:83], v[82:83], s[26:27]
	v_fma_f64 v[88:89], v[62:63], s[10:11], v[94:95]
	v_add_f64 v[70:71], v[76:77], v[92:93]
	v_fma_f64 v[92:93], v[74:75], s[18:19], -v[78:79]
	v_add_f64 v[90:91], v[124:125], v[118:119]
	v_fma_f64 v[76:77], v[74:75], s[4:5], -v[68:69]
	v_add_f64 v[24:25], v[132:133], v[32:33]
	v_add_f64 v[26:27], v[98:99], v[34:35]
	v_fma_f64 v[32:33], v[62:63], s[6:7], v[46:47]
	v_add_f64 v[34:35], v[36:37], v[38:39]
	v_fma_f64 v[36:37], v[74:75], s[4:5], v[68:69]
	;; [unrolled: 2-line block ×4, first 2 shown]
	v_add_f64 v[16:17], v[58:59], v[16:17]
	v_add_f64 v[14:15], v[22:23], v[14:15]
	;; [unrolled: 1-line block ×5, first 2 shown]
	v_fma_f64 v[30:31], v[66:67], s[0:1], v[54:55]
	v_fma_f64 v[62:63], v[72:73], s[24:25], -v[60:61]
	v_add_f64 v[46:47], v[130:131], -v[84:85]
	v_fma_f64 v[106:107], v[72:73], s[4:5], v[48:49]
	v_add_f64 v[58:59], v[64:65], v[70:71]
	v_fma_f64 v[64:65], v[66:67], s[26:27], v[80:81]
	v_add_f64 v[68:69], v[88:89], v[90:91]
	v_fma_f64 v[70:71], v[72:73], s[14:15], -v[82:83]
	v_add_f64 v[74:75], v[92:93], v[24:25]
	v_add_f64 v[26:27], v[76:77], v[26:27]
	v_fma_f64 v[48:49], v[72:73], s[4:5], -v[48:49]
	v_fma_f64 v[102:103], v[66:67], s[22:23], v[162:163]
	v_fma_f64 v[54:55], v[66:67], s[20:21], v[54:55]
	v_add_f64 v[76:77], v[32:33], v[34:35]
	v_fma_f64 v[60:61], v[72:73], s[24:25], v[60:61]
	v_add_f64 v[38:39], v[36:37], v[38:39]
	v_fma_f64 v[66:67], v[66:67], s[16:17], v[80:81]
	v_add_f64 v[78:79], v[40:41], v[18:19]
	v_fma_f64 v[72:73], v[72:73], s[14:15], v[82:83]
	v_add_f64 v[42:43], v[42:43], v[16:17]
	v_add_f64 v[36:37], v[14:15], v[10:11]
	v_add_f64 v[34:35], v[22:23], v[8:9]
	;; [unrolled: 1-line block ×14, first 2 shown]
	v_mul_u32_u24_e32 v8, 0xa0, v140
	v_add_f64 v[40:41], v[54:55], v[76:77]
	v_add_f64 v[38:39], v[60:61], v[38:39]
	;; [unrolled: 1-line block ×3, first 2 shown]
	v_add3_u32 v8, v144, v8, v145
	v_add_f64 v[42:43], v[72:73], v[42:43]
	ds_write_b128 v8, v[34:37]
	ds_write_b128 v8, v[30:33] offset:16
	ds_write_b128 v8, v[26:29] offset:32
	;; [unrolled: 1-line block ×10, first 2 shown]
.LBB0_12:
	s_or_b32 exec_lo, exec_lo, s33
	v_and_b32_e32 v8, 0xff, v140
	s_waitcnt lgkmcnt(0)
	s_barrier
	buffer_gl0_inv
	s_mov_b32 s0, 0x37e14327
	v_mul_lo_u16 v8, 0x75, v8
	s_mov_b32 s1, 0x3fe948f6
	s_mov_b32 s4, 0x36b3c0b5
	;; [unrolled: 1-line block ×4, first 2 shown]
	v_lshrrev_b16 v8, 8, v8
	s_mov_b32 s7, 0xbfe11646
	s_mov_b32 s11, 0x3fe77f67
	;; [unrolled: 1-line block ×4, first 2 shown]
	v_sub_nc_u16 v9, v140, v8
	s_mov_b32 s14, 0xb247c609
	v_lshrrev_b16 v9, 1, v9
	v_and_b32_e32 v9, 0x7f, v9
	v_add_nc_u16 v8, v9, v8
	v_mov_b32_e32 v9, 6
	v_lshrrev_b16 v70, 3, v8
	v_mul_lo_u16 v8, v70, 11
	v_sub_nc_u16 v71, v140, v8
	v_mul_u32_u24_sdwa v8, v71, v9 dst_sel:DWORD dst_unused:UNUSED_PAD src0_sel:BYTE_0 src1_sel:DWORD
	v_lshlrev_b32_e32 v28, 4, v8
	s_clause 0x5
	global_load_dwordx4 v[8:11], v28, s[8:9]
	global_load_dwordx4 v[12:15], v28, s[8:9] offset:16
	global_load_dwordx4 v[16:19], v28, s[8:9] offset:80
	;; [unrolled: 1-line block ×5, first 2 shown]
	ds_read_b128 v[32:35], v142 offset:528
	ds_read_b128 v[36:39], v142 offset:1056
	;; [unrolled: 1-line block ×6, first 2 shown]
	s_waitcnt vmcnt(5) lgkmcnt(5)
	v_mul_f64 v[58:59], v[34:35], v[10:11]
	v_mul_f64 v[10:11], v[32:33], v[10:11]
	s_waitcnt vmcnt(4) lgkmcnt(4)
	v_mul_f64 v[60:61], v[38:39], v[14:15]
	v_mul_f64 v[14:15], v[36:37], v[14:15]
	;; [unrolled: 3-line block ×6, first 2 shown]
	v_fma_f64 v[32:33], v[32:33], v[8:9], -v[58:59]
	v_fma_f64 v[8:9], v[34:35], v[8:9], v[10:11]
	v_fma_f64 v[10:11], v[36:37], v[12:13], -v[60:61]
	v_fma_f64 v[12:13], v[38:39], v[12:13], v[14:15]
	v_fma_f64 v[14:15], v[40:41], v[16:17], -v[62:63]
	v_fma_f64 v[16:17], v[42:43], v[16:17], v[18:19]
	v_fma_f64 v[18:19], v[44:45], v[20:21], -v[64:65]
	v_fma_f64 v[20:21], v[46:47], v[20:21], v[22:23]
	v_fma_f64 v[22:23], v[48:49], v[24:25], -v[66:67]
	v_fma_f64 v[24:25], v[50:51], v[24:25], v[26:27]
	v_fma_f64 v[26:27], v[54:55], v[28:29], -v[68:69]
	v_fma_f64 v[28:29], v[56:57], v[28:29], v[30:31]
	v_add_f64 v[30:31], v[32:33], v[14:15]
	v_add_f64 v[34:35], v[8:9], v[16:17]
	v_add_f64 v[36:37], v[10:11], v[18:19]
	v_add_f64 v[38:39], v[12:13], v[20:21]
	v_add_f64 v[18:19], v[10:11], -v[18:19]
	v_add_f64 v[12:13], v[12:13], -v[20:21]
	v_add_f64 v[40:41], v[22:23], v[26:27]
	v_add_f64 v[42:43], v[24:25], v[28:29]
	v_add_f64 v[20:21], v[26:27], -v[22:23]
	v_add_f64 v[22:23], v[28:29], -v[24:25]
	;; [unrolled: 1-line block ×4, first 2 shown]
	ds_read_b128 v[8:11], v143
	s_waitcnt lgkmcnt(0)
	s_barrier
	buffer_gl0_inv
	v_add_f64 v[14:15], v[36:37], v[30:31]
	v_add_f64 v[26:27], v[38:39], v[34:35]
	v_add_f64 v[28:29], v[30:31], -v[40:41]
	v_add_f64 v[32:33], v[34:35], -v[42:43]
	;; [unrolled: 1-line block ×10, first 2 shown]
	v_add_f64 v[18:19], v[20:21], v[18:19]
	v_add_f64 v[36:37], v[22:23], v[12:13]
	v_add_f64 v[20:21], v[24:25], -v[20:21]
	v_add_f64 v[22:23], v[16:17], -v[22:23]
	v_add_f64 v[40:41], v[40:41], v[14:15]
	v_add_f64 v[26:27], v[42:43], v[26:27]
	v_mul_f64 v[28:29], v[28:29], s[0:1]
	v_mul_f64 v[32:33], v[32:33], s[0:1]
	s_mov_b32 s0, 0x429ad128
	v_mul_f64 v[38:39], v[44:45], s[4:5]
	v_mul_f64 v[42:43], v[46:47], s[4:5]
	;; [unrolled: 1-line block ×4, first 2 shown]
	s_mov_b32 s1, 0x3febfeb5
	s_mov_b32 s6, 0xaaaaaaaa
	v_mul_f64 v[58:59], v[54:55], s[0:1]
	v_mul_f64 v[60:61], v[56:57], s[0:1]
	s_mov_b32 s7, 0xbff2aaaa
	v_add_f64 v[12:13], v[8:9], v[40:41]
	v_add_f64 v[14:15], v[10:11], v[26:27]
	;; [unrolled: 1-line block ×4, first 2 shown]
	v_fma_f64 v[16:17], v[44:45], s[4:5], v[28:29]
	v_fma_f64 v[18:19], v[46:47], s[4:5], v[32:33]
	v_fma_f64 v[24:25], v[30:31], s[10:11], -v[38:39]
	v_fma_f64 v[36:37], v[34:35], s[10:11], -v[42:43]
	s_mov_b32 s11, 0xbfe77f67
	v_fma_f64 v[38:39], v[20:21], s[14:15], v[48:49]
	v_fma_f64 v[42:43], v[22:23], s[14:15], v[50:51]
	s_mov_b32 s15, 0xbfd5d0dc
	v_fma_f64 v[44:45], v[54:55], s[0:1], -v[48:49]
	v_fma_f64 v[46:47], v[56:57], s[0:1], -v[50:51]
	;; [unrolled: 1-line block ×6, first 2 shown]
	s_mov_b32 s0, 0x37c3f68c
	s_mov_b32 s1, 0x3fdc38aa
	v_fma_f64 v[40:41], v[40:41], s[6:7], v[12:13]
	v_fma_f64 v[26:27], v[26:27], s[6:7], v[14:15]
	;; [unrolled: 1-line block ×8, first 2 shown]
	v_cmp_gt_u32_e64 s0, 11, v140
	v_add_f64 v[44:45], v[16:17], v[40:41]
	v_add_f64 v[46:47], v[18:19], v[26:27]
	;; [unrolled: 1-line block ×6, first 2 shown]
	v_and_b32_e32 v36, 0xffff, v70
	v_mov_b32_e32 v37, 4
	v_mad_u32_u24 v36, 0x4d0, v36, 0
	v_lshlrev_b32_sdwa v37, v37, v71 dst_sel:DWORD dst_unused:UNUSED_PAD src0_sel:DWORD src1_sel:BYTE_0
	v_add3_u32 v36, v36, v37, v145
	v_add_f64 v[16:17], v[42:43], v[44:45]
	v_add_f64 v[18:19], v[46:47], -v[38:39]
	v_add_f64 v[20:21], v[10:11], v[48:49]
	v_add_f64 v[22:23], v[50:51], -v[8:9]
	v_add_f64 v[24:25], v[28:29], -v[34:35]
	v_add_f64 v[26:27], v[32:33], v[30:31]
	v_add_f64 v[28:29], v[34:35], v[28:29]
	v_add_f64 v[30:31], v[30:31], -v[32:33]
	v_add_f64 v[32:33], v[48:49], -v[10:11]
	v_add_f64 v[34:35], v[8:9], v[50:51]
	v_add_f64 v[8:9], v[44:45], -v[42:43]
	v_add_f64 v[10:11], v[38:39], v[46:47]
	ds_write_b128 v36, v[12:15]
	ds_write_b128 v36, v[16:19] offset:176
	ds_write_b128 v36, v[20:23] offset:352
	;; [unrolled: 1-line block ×6, first 2 shown]
	s_waitcnt lgkmcnt(0)
	s_barrier
	buffer_gl0_inv
	ds_read_b128 v[16:19], v143
	ds_read_b128 v[12:15], v142 offset:528
	ds_read_b128 v[28:31], v142 offset:1232
	;; [unrolled: 1-line block ×5, first 2 shown]
	s_and_saveexec_b32 s1, s0
	s_cbranch_execz .LBB0_14
; %bb.13:
	ds_read_b128 v[8:11], v142 offset:1056
	ds_read_b128 v[0:3], v142 offset:2288
	;; [unrolled: 1-line block ×3, first 2 shown]
.LBB0_14:
	s_or_b32 exec_lo, exec_lo, s1
	v_lshlrev_b32_e32 v36, 1, v140
	v_mov_b32_e32 v37, 0
	s_mov_b32 s4, 0xe8584caa
	s_mov_b32 s5, 0x3febb67a
	;; [unrolled: 1-line block ×4, first 2 shown]
	v_lshlrev_b64 v[38:39], 4, v[36:37]
	v_lshlrev_b32_e32 v36, 1, v139
	v_lshlrev_b64 v[40:41], 4, v[36:37]
	v_add_co_u32 v42, s1, s8, v38
	v_add_co_ci_u32_e64 v43, s1, s9, v39, s1
	v_lshl_add_u32 v36, v141, 4, v144
	v_add_co_u32 v50, s1, s8, v40
	v_add_co_ci_u32_e64 v51, s1, s9, v41, s1
	s_clause 0x3
	global_load_dwordx4 v[38:41], v[42:43], off offset:1056
	global_load_dwordx4 v[42:45], v[42:43], off offset:1072
	global_load_dwordx4 v[46:49], v[50:51], off offset:1056
	global_load_dwordx4 v[54:57], v[50:51], off offset:1072
	s_waitcnt vmcnt(0) lgkmcnt(0)
	s_barrier
	buffer_gl0_inv
	v_mul_f64 v[50:51], v[30:31], v[40:41]
	v_mul_f64 v[58:59], v[34:35], v[44:45]
	;; [unrolled: 1-line block ×8, first 2 shown]
	v_fma_f64 v[28:29], v[28:29], v[38:39], -v[50:51]
	v_fma_f64 v[32:33], v[32:33], v[42:43], -v[58:59]
	v_fma_f64 v[30:31], v[30:31], v[38:39], v[40:41]
	v_fma_f64 v[34:35], v[34:35], v[42:43], v[44:45]
	v_fma_f64 v[20:21], v[20:21], v[46:47], -v[60:61]
	v_fma_f64 v[24:25], v[24:25], v[54:55], -v[62:63]
	v_fma_f64 v[22:23], v[22:23], v[46:47], v[48:49]
	v_fma_f64 v[26:27], v[26:27], v[54:55], v[56:57]
	v_add_f64 v[46:47], v[16:17], v[28:29]
	v_add_f64 v[38:39], v[28:29], v[32:33]
	v_add_f64 v[28:29], v[28:29], -v[32:33]
	v_add_f64 v[40:41], v[30:31], v[34:35]
	v_add_f64 v[48:49], v[30:31], -v[34:35]
	v_add_f64 v[42:43], v[20:21], v[24:25]
	v_add_f64 v[30:31], v[18:19], v[30:31]
	;; [unrolled: 1-line block ×5, first 2 shown]
	v_add_f64 v[56:57], v[22:23], -v[26:27]
	v_add_f64 v[58:59], v[20:21], -v[24:25]
	v_fma_f64 v[38:39], v[38:39], -0.5, v[16:17]
	v_fma_f64 v[40:41], v[40:41], -0.5, v[18:19]
	;; [unrolled: 1-line block ×3, first 2 shown]
	v_add_f64 v[12:13], v[46:47], v[32:33]
	v_fma_f64 v[44:45], v[44:45], -0.5, v[14:15]
	v_add_f64 v[14:15], v[30:31], v[34:35]
	v_add_f64 v[16:17], v[50:51], v[24:25]
	;; [unrolled: 1-line block ×3, first 2 shown]
	v_fma_f64 v[20:21], v[48:49], s[4:5], v[38:39]
	v_fma_f64 v[24:25], v[48:49], s[6:7], v[38:39]
	v_fma_f64 v[22:23], v[28:29], s[6:7], v[40:41]
	v_fma_f64 v[26:27], v[28:29], s[4:5], v[40:41]
	v_fma_f64 v[28:29], v[56:57], s[4:5], v[42:43]
	v_fma_f64 v[32:33], v[56:57], s[6:7], v[42:43]
	v_fma_f64 v[30:31], v[58:59], s[6:7], v[44:45]
	v_fma_f64 v[34:35], v[58:59], s[4:5], v[44:45]
	ds_write_b128 v142, v[12:15]
	ds_write_b128 v142, v[16:19] offset:528
	ds_write_b128 v142, v[20:23] offset:1232
	;; [unrolled: 1-line block ×5, first 2 shown]
	s_and_saveexec_b32 s1, s0
	s_cbranch_execz .LBB0_16
; %bb.15:
	v_add_nc_u32_e32 v12, -11, v140
	v_cndmask_b32_e64 v12, v12, v138, s0
	v_lshlrev_b32_e32 v36, 1, v12
	v_lshlrev_b64 v[12:13], 4, v[36:37]
	v_add_co_u32 v16, s0, s8, v12
	v_add_co_ci_u32_e64 v17, s0, s9, v13, s0
	s_clause 0x1
	global_load_dwordx4 v[12:15], v[16:17], off offset:1056
	global_load_dwordx4 v[16:19], v[16:17], off offset:1072
	s_waitcnt vmcnt(1)
	v_mul_f64 v[20:21], v[0:1], v[14:15]
	s_waitcnt vmcnt(0)
	v_mul_f64 v[22:23], v[4:5], v[18:19]
	v_mul_f64 v[14:15], v[2:3], v[14:15]
	;; [unrolled: 1-line block ×3, first 2 shown]
	v_fma_f64 v[2:3], v[2:3], v[12:13], v[20:21]
	v_fma_f64 v[6:7], v[6:7], v[16:17], v[22:23]
	v_fma_f64 v[0:1], v[0:1], v[12:13], -v[14:15]
	v_fma_f64 v[4:5], v[4:5], v[16:17], -v[18:19]
	v_add_f64 v[18:19], v[10:11], v[2:3]
	v_add_f64 v[12:13], v[2:3], v[6:7]
	;; [unrolled: 1-line block ×3, first 2 shown]
	v_add_f64 v[16:17], v[0:1], -v[4:5]
	v_add_f64 v[0:1], v[8:9], v[0:1]
	v_fma_f64 v[10:11], v[12:13], -0.5, v[10:11]
	v_add_f64 v[12:13], v[2:3], -v[6:7]
	v_fma_f64 v[14:15], v[14:15], -0.5, v[8:9]
	v_add_f64 v[2:3], v[18:19], v[6:7]
	v_add_f64 v[0:1], v[0:1], v[4:5]
	v_fma_f64 v[6:7], v[16:17], s[4:5], v[10:11]
	v_fma_f64 v[10:11], v[16:17], s[6:7], v[10:11]
	;; [unrolled: 1-line block ×4, first 2 shown]
	ds_write_b128 v142, v[0:3] offset:1056
	ds_write_b128 v142, v[8:11] offset:2288
	;; [unrolled: 1-line block ×3, first 2 shown]
.LBB0_16:
	s_or_b32 exec_lo, exec_lo, s1
	s_waitcnt lgkmcnt(0)
	s_barrier
	buffer_gl0_inv
	s_and_saveexec_b32 s0, vcc_lo
	s_cbranch_execz .LBB0_18
; %bb.17:
	v_mad_u64_u32 v[8:9], null, s2, v140, 0
	v_mad_u64_u32 v[10:11], null, s2, v139, 0
	;; [unrolled: 1-line block ×3, first 2 shown]
	v_add_co_u32 v30, vcc_lo, s12, v52
	v_mov_b32_e32 v0, v9
	v_add_co_ci_u32_e32 v31, vcc_lo, s13, v53, vcc_lo
	v_mov_b32_e32 v1, v11
	v_mad_u64_u32 v[20:21], null, s2, v134, 0
	v_mad_u64_u32 v[24:25], null, s2, v135, 0
	;; [unrolled: 1-line block ×4, first 2 shown]
	v_mov_b32_e32 v9, v2
	ds_read_b128 v[0:3], v143
	ds_read_b128 v[4:7], v143 offset:528
	v_lshlrev_b64 v[8:9], 4, v[8:9]
	v_mov_b32_e32 v11, v14
	v_mad_u64_u32 v[14:15], null, s2, v137, 0
	v_lshlrev_b64 v[10:11], 4, v[10:11]
	v_add_co_u32 v8, vcc_lo, v30, v8
	v_add_co_ci_u32_e32 v9, vcc_lo, v31, v9, vcc_lo
	v_mad_u64_u32 v[16:17], null, s3, v138, v[13:14]
	v_add_co_u32 v10, vcc_lo, v30, v10
	v_add_co_ci_u32_e32 v11, vcc_lo, v31, v11, vcc_lo
	s_waitcnt lgkmcnt(1)
	global_store_dwordx4 v[8:9], v[0:3], off
	s_waitcnt lgkmcnt(0)
	global_store_dwordx4 v[10:11], v[4:7], off
	v_mov_b32_e32 v13, v16
	v_mov_b32_e32 v0, v15
	v_mad_u64_u32 v[8:9], null, s2, v136, 0
	v_lshlrev_b64 v[1:2], 4, v[12:13]
	v_mov_b32_e32 v13, v25
	v_mad_u64_u32 v[3:4], null, s3, v137, v[0:1]
	v_mov_b32_e32 v0, v9
	v_add_co_u32 v22, vcc_lo, v30, v1
	v_add_co_ci_u32_e32 v23, vcc_lo, v31, v2, vcc_lo
	v_mad_u64_u32 v[9:10], null, s3, v136, v[0:1]
	v_mov_b32_e32 v15, v3
	v_mov_b32_e32 v10, v21
	ds_read_b128 v[0:3], v143 offset:1056
	ds_read_b128 v[4:7], v143 offset:1584
	v_lshlrev_b64 v[11:12], 4, v[14:15]
	v_lshlrev_b64 v[28:29], 4, v[8:9]
	v_mad_u64_u32 v[14:15], null, s3, v134, v[10:11]
	v_mad_u64_u32 v[25:26], null, s3, v135, v[13:14]
	v_add_co_u32 v26, vcc_lo, v30, v11
	v_add_co_ci_u32_e32 v27, vcc_lo, v31, v12, vcc_lo
	v_mov_b32_e32 v21, v14
	ds_read_b128 v[8:11], v143 offset:2112
	ds_read_b128 v[12:15], v143 offset:2640
	;; [unrolled: 1-line block ×3, first 2 shown]
	v_add_co_u32 v28, vcc_lo, v30, v28
	v_lshlrev_b64 v[24:25], 4, v[24:25]
	v_lshlrev_b64 v[20:21], 4, v[20:21]
	v_add_co_ci_u32_e32 v29, vcc_lo, v31, v29, vcc_lo
	v_add_co_u32 v20, vcc_lo, v30, v20
	v_add_co_ci_u32_e32 v21, vcc_lo, v31, v21, vcc_lo
	v_add_co_u32 v24, vcc_lo, v30, v24
	v_add_co_ci_u32_e32 v25, vcc_lo, v31, v25, vcc_lo
	s_waitcnt lgkmcnt(4)
	global_store_dwordx4 v[22:23], v[0:3], off
	s_waitcnt lgkmcnt(3)
	global_store_dwordx4 v[26:27], v[4:7], off
	;; [unrolled: 2-line block ×5, first 2 shown]
.LBB0_18:
	s_endpgm
	.section	.rodata,"a",@progbits
	.p2align	6, 0x0
	.amdhsa_kernel fft_rtc_fwd_len231_factors_11_7_3_wgs_231_tpt_33_dp_ip_CI_sbrr_dirReg
		.amdhsa_group_segment_fixed_size 0
		.amdhsa_private_segment_fixed_size 0
		.amdhsa_kernarg_size 88
		.amdhsa_user_sgpr_count 6
		.amdhsa_user_sgpr_private_segment_buffer 1
		.amdhsa_user_sgpr_dispatch_ptr 0
		.amdhsa_user_sgpr_queue_ptr 0
		.amdhsa_user_sgpr_kernarg_segment_ptr 1
		.amdhsa_user_sgpr_dispatch_id 0
		.amdhsa_user_sgpr_flat_scratch_init 0
		.amdhsa_user_sgpr_private_segment_size 0
		.amdhsa_wavefront_size32 1
		.amdhsa_uses_dynamic_stack 0
		.amdhsa_system_sgpr_private_segment_wavefront_offset 0
		.amdhsa_system_sgpr_workgroup_id_x 1
		.amdhsa_system_sgpr_workgroup_id_y 0
		.amdhsa_system_sgpr_workgroup_id_z 0
		.amdhsa_system_sgpr_workgroup_info 0
		.amdhsa_system_vgpr_workitem_id 0
		.amdhsa_next_free_vgpr 198
		.amdhsa_next_free_sgpr 38
		.amdhsa_reserve_vcc 1
		.amdhsa_reserve_flat_scratch 0
		.amdhsa_float_round_mode_32 0
		.amdhsa_float_round_mode_16_64 0
		.amdhsa_float_denorm_mode_32 3
		.amdhsa_float_denorm_mode_16_64 3
		.amdhsa_dx10_clamp 1
		.amdhsa_ieee_mode 1
		.amdhsa_fp16_overflow 0
		.amdhsa_workgroup_processor_mode 1
		.amdhsa_memory_ordered 1
		.amdhsa_forward_progress 0
		.amdhsa_shared_vgpr_count 0
		.amdhsa_exception_fp_ieee_invalid_op 0
		.amdhsa_exception_fp_denorm_src 0
		.amdhsa_exception_fp_ieee_div_zero 0
		.amdhsa_exception_fp_ieee_overflow 0
		.amdhsa_exception_fp_ieee_underflow 0
		.amdhsa_exception_fp_ieee_inexact 0
		.amdhsa_exception_int_div_zero 0
	.end_amdhsa_kernel
	.text
.Lfunc_end0:
	.size	fft_rtc_fwd_len231_factors_11_7_3_wgs_231_tpt_33_dp_ip_CI_sbrr_dirReg, .Lfunc_end0-fft_rtc_fwd_len231_factors_11_7_3_wgs_231_tpt_33_dp_ip_CI_sbrr_dirReg
                                        ; -- End function
	.section	.AMDGPU.csdata,"",@progbits
; Kernel info:
; codeLenInByte = 7480
; NumSgprs: 40
; NumVgprs: 198
; ScratchSize: 0
; MemoryBound: 0
; FloatMode: 240
; IeeeMode: 1
; LDSByteSize: 0 bytes/workgroup (compile time only)
; SGPRBlocks: 4
; VGPRBlocks: 24
; NumSGPRsForWavesPerEU: 40
; NumVGPRsForWavesPerEU: 198
; Occupancy: 4
; WaveLimiterHint : 1
; COMPUTE_PGM_RSRC2:SCRATCH_EN: 0
; COMPUTE_PGM_RSRC2:USER_SGPR: 6
; COMPUTE_PGM_RSRC2:TRAP_HANDLER: 0
; COMPUTE_PGM_RSRC2:TGID_X_EN: 1
; COMPUTE_PGM_RSRC2:TGID_Y_EN: 0
; COMPUTE_PGM_RSRC2:TGID_Z_EN: 0
; COMPUTE_PGM_RSRC2:TIDIG_COMP_CNT: 0
	.text
	.p2alignl 6, 3214868480
	.fill 48, 4, 3214868480
	.type	__hip_cuid_74681fd307cf8bf,@object ; @__hip_cuid_74681fd307cf8bf
	.section	.bss,"aw",@nobits
	.globl	__hip_cuid_74681fd307cf8bf
__hip_cuid_74681fd307cf8bf:
	.byte	0                               ; 0x0
	.size	__hip_cuid_74681fd307cf8bf, 1

	.ident	"AMD clang version 19.0.0git (https://github.com/RadeonOpenCompute/llvm-project roc-6.4.0 25133 c7fe45cf4b819c5991fe208aaa96edf142730f1d)"
	.section	".note.GNU-stack","",@progbits
	.addrsig
	.addrsig_sym __hip_cuid_74681fd307cf8bf
	.amdgpu_metadata
---
amdhsa.kernels:
  - .args:
      - .actual_access:  read_only
        .address_space:  global
        .offset:         0
        .size:           8
        .value_kind:     global_buffer
      - .offset:         8
        .size:           8
        .value_kind:     by_value
      - .actual_access:  read_only
        .address_space:  global
        .offset:         16
        .size:           8
        .value_kind:     global_buffer
      - .actual_access:  read_only
        .address_space:  global
        .offset:         24
        .size:           8
        .value_kind:     global_buffer
      - .offset:         32
        .size:           8
        .value_kind:     by_value
      - .actual_access:  read_only
        .address_space:  global
        .offset:         40
        .size:           8
        .value_kind:     global_buffer
      - .actual_access:  read_only
        .address_space:  global
        .offset:         48
        .size:           8
        .value_kind:     global_buffer
      - .offset:         56
        .size:           4
        .value_kind:     by_value
      - .actual_access:  read_only
        .address_space:  global
        .offset:         64
        .size:           8
        .value_kind:     global_buffer
      - .actual_access:  read_only
        .address_space:  global
        .offset:         72
        .size:           8
        .value_kind:     global_buffer
      - .address_space:  global
        .offset:         80
        .size:           8
        .value_kind:     global_buffer
    .group_segment_fixed_size: 0
    .kernarg_segment_align: 8
    .kernarg_segment_size: 88
    .language:       OpenCL C
    .language_version:
      - 2
      - 0
    .max_flat_workgroup_size: 231
    .name:           fft_rtc_fwd_len231_factors_11_7_3_wgs_231_tpt_33_dp_ip_CI_sbrr_dirReg
    .private_segment_fixed_size: 0
    .sgpr_count:     40
    .sgpr_spill_count: 0
    .symbol:         fft_rtc_fwd_len231_factors_11_7_3_wgs_231_tpt_33_dp_ip_CI_sbrr_dirReg.kd
    .uniform_work_group_size: 1
    .uses_dynamic_stack: false
    .vgpr_count:     198
    .vgpr_spill_count: 0
    .wavefront_size: 32
    .workgroup_processor_mode: 1
amdhsa.target:   amdgcn-amd-amdhsa--gfx1030
amdhsa.version:
  - 1
  - 2
...

	.end_amdgpu_metadata
